;; amdgpu-corpus repo=ROCm/rocFFT kind=compiled arch=gfx1030 opt=O3
	.text
	.amdgcn_target "amdgcn-amd-amdhsa--gfx1030"
	.amdhsa_code_object_version 6
	.protected	fft_rtc_fwd_len143_factors_13_11_wgs_182_tpt_13_dp_ip_CI_unitstride_sbrr_dirReg ; -- Begin function fft_rtc_fwd_len143_factors_13_11_wgs_182_tpt_13_dp_ip_CI_unitstride_sbrr_dirReg
	.globl	fft_rtc_fwd_len143_factors_13_11_wgs_182_tpt_13_dp_ip_CI_unitstride_sbrr_dirReg
	.p2align	8
	.type	fft_rtc_fwd_len143_factors_13_11_wgs_182_tpt_13_dp_ip_CI_unitstride_sbrr_dirReg,@function
fft_rtc_fwd_len143_factors_13_11_wgs_182_tpt_13_dp_ip_CI_unitstride_sbrr_dirReg: ; @fft_rtc_fwd_len143_factors_13_11_wgs_182_tpt_13_dp_ip_CI_unitstride_sbrr_dirReg
; %bb.0:
	s_load_dwordx4 s[8:11], s[4:5], 0x0
	v_mul_u32_u24_e32 v1, 0x13b2, v0
	s_clause 0x1
	s_load_dwordx2 s[2:3], s[4:5], 0x50
	s_load_dwordx2 s[12:13], s[4:5], 0x18
	v_mov_b32_e32 v3, 0
	v_lshrrev_b32_e32 v1, 16, v1
	v_mad_u64_u32 v[57:58], null, s6, 14, v[1:2]
	v_mov_b32_e32 v58, v3
	v_mov_b32_e32 v1, 0
	;; [unrolled: 1-line block ×4, first 2 shown]
	s_waitcnt lgkmcnt(0)
	v_cmp_lt_u64_e64 s0, s[10:11], 2
	v_mov_b32_e32 v8, v58
	s_and_b32 vcc_lo, exec_lo, s0
	s_cbranch_vccnz .LBB0_8
; %bb.1:
	s_load_dwordx2 s[0:1], s[4:5], 0x10
	v_mov_b32_e32 v1, 0
	v_mov_b32_e32 v5, v57
	s_add_u32 s6, s12, 8
	v_mov_b32_e32 v2, 0
	v_mov_b32_e32 v6, v58
	s_addc_u32 s7, s13, 0
	s_mov_b64 s[16:17], 1
	s_waitcnt lgkmcnt(0)
	s_add_u32 s14, s0, 8
	s_addc_u32 s15, s1, 0
.LBB0_2:                                ; =>This Inner Loop Header: Depth=1
	s_load_dwordx2 s[18:19], s[14:15], 0x0
                                        ; implicit-def: $vgpr7_vgpr8
	s_mov_b32 s0, exec_lo
	s_waitcnt lgkmcnt(0)
	v_or_b32_e32 v4, s19, v6
	v_cmpx_ne_u64_e32 0, v[3:4]
	s_xor_b32 s1, exec_lo, s0
	s_cbranch_execz .LBB0_4
; %bb.3:                                ;   in Loop: Header=BB0_2 Depth=1
	v_cvt_f32_u32_e32 v4, s18
	v_cvt_f32_u32_e32 v7, s19
	s_sub_u32 s0, 0, s18
	s_subb_u32 s20, 0, s19
	v_fmac_f32_e32 v4, 0x4f800000, v7
	v_rcp_f32_e32 v4, v4
	v_mul_f32_e32 v4, 0x5f7ffffc, v4
	v_mul_f32_e32 v7, 0x2f800000, v4
	v_trunc_f32_e32 v7, v7
	v_fmac_f32_e32 v4, 0xcf800000, v7
	v_cvt_u32_f32_e32 v7, v7
	v_cvt_u32_f32_e32 v4, v4
	v_mul_lo_u32 v8, s0, v7
	v_mul_hi_u32 v9, s0, v4
	v_mul_lo_u32 v10, s20, v4
	v_add_nc_u32_e32 v8, v9, v8
	v_mul_lo_u32 v9, s0, v4
	v_add_nc_u32_e32 v8, v8, v10
	v_mul_hi_u32 v10, v4, v9
	v_mul_lo_u32 v11, v4, v8
	v_mul_hi_u32 v12, v4, v8
	v_mul_hi_u32 v13, v7, v9
	v_mul_lo_u32 v9, v7, v9
	v_mul_hi_u32 v14, v7, v8
	v_mul_lo_u32 v8, v7, v8
	v_add_co_u32 v10, vcc_lo, v10, v11
	v_add_co_ci_u32_e32 v11, vcc_lo, 0, v12, vcc_lo
	v_add_co_u32 v9, vcc_lo, v10, v9
	v_add_co_ci_u32_e32 v9, vcc_lo, v11, v13, vcc_lo
	v_add_co_ci_u32_e32 v10, vcc_lo, 0, v14, vcc_lo
	v_add_co_u32 v8, vcc_lo, v9, v8
	v_add_co_ci_u32_e32 v9, vcc_lo, 0, v10, vcc_lo
	v_add_co_u32 v4, vcc_lo, v4, v8
	v_add_co_ci_u32_e32 v7, vcc_lo, v7, v9, vcc_lo
	v_mul_hi_u32 v8, s0, v4
	v_mul_lo_u32 v10, s20, v4
	v_mul_lo_u32 v9, s0, v7
	v_add_nc_u32_e32 v8, v8, v9
	v_mul_lo_u32 v9, s0, v4
	v_add_nc_u32_e32 v8, v8, v10
	v_mul_hi_u32 v10, v4, v9
	v_mul_lo_u32 v11, v4, v8
	v_mul_hi_u32 v12, v4, v8
	v_mul_hi_u32 v13, v7, v9
	v_mul_lo_u32 v9, v7, v9
	v_mul_hi_u32 v14, v7, v8
	v_mul_lo_u32 v8, v7, v8
	v_add_co_u32 v10, vcc_lo, v10, v11
	v_add_co_ci_u32_e32 v11, vcc_lo, 0, v12, vcc_lo
	v_add_co_u32 v9, vcc_lo, v10, v9
	v_add_co_ci_u32_e32 v9, vcc_lo, v11, v13, vcc_lo
	v_add_co_ci_u32_e32 v10, vcc_lo, 0, v14, vcc_lo
	v_add_co_u32 v8, vcc_lo, v9, v8
	v_add_co_ci_u32_e32 v9, vcc_lo, 0, v10, vcc_lo
	v_add_co_u32 v4, vcc_lo, v4, v8
	v_add_co_ci_u32_e32 v11, vcc_lo, v7, v9, vcc_lo
	v_mul_hi_u32 v13, v5, v4
	v_mad_u64_u32 v[9:10], null, v6, v4, 0
	v_mad_u64_u32 v[7:8], null, v5, v11, 0
	v_mad_u64_u32 v[11:12], null, v6, v11, 0
	v_add_co_u32 v4, vcc_lo, v13, v7
	v_add_co_ci_u32_e32 v7, vcc_lo, 0, v8, vcc_lo
	v_add_co_u32 v4, vcc_lo, v4, v9
	v_add_co_ci_u32_e32 v4, vcc_lo, v7, v10, vcc_lo
	v_add_co_ci_u32_e32 v7, vcc_lo, 0, v12, vcc_lo
	v_add_co_u32 v4, vcc_lo, v4, v11
	v_add_co_ci_u32_e32 v9, vcc_lo, 0, v7, vcc_lo
	v_mul_lo_u32 v10, s19, v4
	v_mad_u64_u32 v[7:8], null, s18, v4, 0
	v_mul_lo_u32 v11, s18, v9
	v_sub_co_u32 v7, vcc_lo, v5, v7
	v_add3_u32 v8, v8, v11, v10
	v_sub_nc_u32_e32 v10, v6, v8
	v_subrev_co_ci_u32_e64 v10, s0, s19, v10, vcc_lo
	v_add_co_u32 v11, s0, v4, 2
	v_add_co_ci_u32_e64 v12, s0, 0, v9, s0
	v_sub_co_u32 v13, s0, v7, s18
	v_sub_co_ci_u32_e32 v8, vcc_lo, v6, v8, vcc_lo
	v_subrev_co_ci_u32_e64 v10, s0, 0, v10, s0
	v_cmp_le_u32_e32 vcc_lo, s18, v13
	v_cmp_eq_u32_e64 s0, s19, v8
	v_cndmask_b32_e64 v13, 0, -1, vcc_lo
	v_cmp_le_u32_e32 vcc_lo, s19, v10
	v_cndmask_b32_e64 v14, 0, -1, vcc_lo
	v_cmp_le_u32_e32 vcc_lo, s18, v7
	;; [unrolled: 2-line block ×3, first 2 shown]
	v_cndmask_b32_e64 v15, 0, -1, vcc_lo
	v_cmp_eq_u32_e32 vcc_lo, s19, v10
	v_cndmask_b32_e64 v7, v15, v7, s0
	v_cndmask_b32_e32 v10, v14, v13, vcc_lo
	v_add_co_u32 v13, vcc_lo, v4, 1
	v_add_co_ci_u32_e32 v14, vcc_lo, 0, v9, vcc_lo
	v_cmp_ne_u32_e32 vcc_lo, 0, v10
	v_cndmask_b32_e32 v8, v14, v12, vcc_lo
	v_cndmask_b32_e32 v10, v13, v11, vcc_lo
	v_cmp_ne_u32_e32 vcc_lo, 0, v7
	v_cndmask_b32_e32 v8, v9, v8, vcc_lo
	v_cndmask_b32_e32 v7, v4, v10, vcc_lo
.LBB0_4:                                ;   in Loop: Header=BB0_2 Depth=1
	s_andn2_saveexec_b32 s0, s1
	s_cbranch_execz .LBB0_6
; %bb.5:                                ;   in Loop: Header=BB0_2 Depth=1
	v_cvt_f32_u32_e32 v4, s18
	s_sub_i32 s1, 0, s18
	v_rcp_iflag_f32_e32 v4, v4
	v_mul_f32_e32 v4, 0x4f7ffffe, v4
	v_cvt_u32_f32_e32 v4, v4
	v_mul_lo_u32 v7, s1, v4
	v_mul_hi_u32 v7, v4, v7
	v_add_nc_u32_e32 v4, v4, v7
	v_mul_hi_u32 v4, v5, v4
	v_mul_lo_u32 v7, v4, s18
	v_add_nc_u32_e32 v8, 1, v4
	v_sub_nc_u32_e32 v7, v5, v7
	v_subrev_nc_u32_e32 v9, s18, v7
	v_cmp_le_u32_e32 vcc_lo, s18, v7
	v_cndmask_b32_e32 v7, v7, v9, vcc_lo
	v_cndmask_b32_e32 v4, v4, v8, vcc_lo
	v_cmp_le_u32_e32 vcc_lo, s18, v7
	v_add_nc_u32_e32 v8, 1, v4
	v_cndmask_b32_e32 v7, v4, v8, vcc_lo
	v_mov_b32_e32 v8, v3
.LBB0_6:                                ;   in Loop: Header=BB0_2 Depth=1
	s_or_b32 exec_lo, exec_lo, s0
	s_load_dwordx2 s[0:1], s[6:7], 0x0
	v_mul_lo_u32 v4, v8, s18
	v_mul_lo_u32 v11, v7, s19
	v_mad_u64_u32 v[9:10], null, v7, s18, 0
	s_add_u32 s16, s16, 1
	s_addc_u32 s17, s17, 0
	s_add_u32 s6, s6, 8
	s_addc_u32 s7, s7, 0
	;; [unrolled: 2-line block ×3, first 2 shown]
	v_add3_u32 v4, v10, v11, v4
	v_sub_co_u32 v5, vcc_lo, v5, v9
	v_sub_co_ci_u32_e32 v4, vcc_lo, v6, v4, vcc_lo
	s_waitcnt lgkmcnt(0)
	v_mul_lo_u32 v6, s1, v5
	v_mul_lo_u32 v4, s0, v4
	v_mad_u64_u32 v[1:2], null, s0, v5, v[1:2]
	v_cmp_ge_u64_e64 s0, s[16:17], s[10:11]
	s_and_b32 vcc_lo, exec_lo, s0
	v_add3_u32 v2, v6, v2, v4
	s_cbranch_vccnz .LBB0_8
; %bb.7:                                ;   in Loop: Header=BB0_2 Depth=1
	v_mov_b32_e32 v5, v7
	v_mov_b32_e32 v6, v8
	s_branch .LBB0_2
.LBB0_8:
	s_lshl_b64 s[0:1], s[10:11], 3
	v_mul_hi_u32 v3, 0x13b13b14, v0
	s_add_u32 s0, s12, s0
	s_addc_u32 s1, s13, s1
	v_mov_b32_e32 v54, 0
	s_load_dwordx2 s[0:1], s[0:1], 0x0
	s_load_dwordx2 s[4:5], s[4:5], 0x20
                                        ; implicit-def: $vgpr10_vgpr11
                                        ; implicit-def: $vgpr14_vgpr15
                                        ; implicit-def: $vgpr26_vgpr27
                                        ; implicit-def: $vgpr34_vgpr35
                                        ; implicit-def: $vgpr18_vgpr19
                                        ; implicit-def: $vgpr22_vgpr23
                                        ; implicit-def: $vgpr30_vgpr31
                                        ; implicit-def: $vgpr38_vgpr39
                                        ; implicit-def: $vgpr42_vgpr43
                                        ; implicit-def: $vgpr50_vgpr51
                                        ; implicit-def: $vgpr46_vgpr47
	s_waitcnt lgkmcnt(0)
	v_mul_lo_u32 v4, s0, v8
	v_mul_lo_u32 v5, s1, v7
	v_mad_u64_u32 v[52:53], null, s0, v7, v[1:2]
	v_mul_u32_u24_e32 v1, 13, v3
	v_cmp_gt_u64_e32 vcc_lo, s[4:5], v[7:8]
                                        ; implicit-def: $vgpr6_vgpr7
                                        ; implicit-def: $vgpr2_vgpr3
	v_sub_nc_u32_e32 v55, v0, v1
	v_add3_u32 v53, v5, v53, v4
	s_and_saveexec_b32 s1, vcc_lo
	s_cbranch_execz .LBB0_12
; %bb.9:
	s_mov_b32 s4, exec_lo
                                        ; implicit-def: $vgpr0_vgpr1
                                        ; implicit-def: $vgpr44_vgpr45
                                        ; implicit-def: $vgpr48_vgpr49
                                        ; implicit-def: $vgpr40_vgpr41
                                        ; implicit-def: $vgpr36_vgpr37
                                        ; implicit-def: $vgpr28_vgpr29
                                        ; implicit-def: $vgpr20_vgpr21
                                        ; implicit-def: $vgpr16_vgpr17
                                        ; implicit-def: $vgpr32_vgpr33
                                        ; implicit-def: $vgpr24_vgpr25
                                        ; implicit-def: $vgpr12_vgpr13
                                        ; implicit-def: $vgpr8_vgpr9
                                        ; implicit-def: $vgpr4_vgpr5
	v_cmpx_gt_u32_e32 11, v55
; %bb.10:
	v_mov_b32_e32 v56, 0
	v_lshlrev_b64 v[0:1], 4, v[52:53]
	v_lshlrev_b64 v[2:3], 4, v[55:56]
	v_add_co_u32 v0, s0, s2, v0
	v_add_co_ci_u32_e64 v1, s0, s3, v1, s0
	v_add_co_u32 v4, s0, v0, v2
	v_add_co_ci_u32_e64 v5, s0, v1, v3, s0
	s_clause 0x7
	global_load_dwordx4 v[0:3], v[4:5], off
	global_load_dwordx4 v[44:47], v[4:5], off offset:176
	global_load_dwordx4 v[48:51], v[4:5], off offset:352
	;; [unrolled: 1-line block ×7, first 2 shown]
	v_add_co_u32 v6, s0, 0x800, v4
	v_add_co_ci_u32_e64 v7, s0, 0, v5, s0
	s_clause 0x4
	global_load_dwordx4 v[32:35], v[4:5], off offset:1408
	global_load_dwordx4 v[24:27], v[4:5], off offset:1584
	;; [unrolled: 1-line block ×5, first 2 shown]
; %bb.11:
	s_or_b32 exec_lo, exec_lo, s4
	v_mov_b32_e32 v54, v55
.LBB0_12:
	s_or_b32 exec_lo, exec_lo, s1
	v_lshrrev_b32_e32 v56, 1, v57
	s_mov_b32 s33, exec_lo
	v_mul_hi_u32 v56, 0x92492493, v56
	v_lshrrev_b32_e32 v56, 2, v56
	v_mul_lo_u32 v56, v56, 14
	v_sub_nc_u32_e32 v56, v57, v56
	v_mul_u32_u24_e32 v96, 0x8f, v56
	v_cmpx_gt_u32_e32 11, v55
	s_cbranch_execz .LBB0_14
; %bb.13:
	s_waitcnt vmcnt(11)
	v_add_f64 v[90:91], v[46:47], v[2:3]
	v_add_f64 v[94:95], v[44:45], v[0:1]
	s_waitcnt vmcnt(2)
	v_add_f64 v[76:77], v[14:15], v[42:43]
	v_add_f64 v[88:89], v[40:41], -v[12:13]
	v_add_f64 v[78:79], v[12:13], v[40:41]
	v_add_f64 v[86:87], v[42:43], -v[14:15]
	;; [unrolled: 2-line block ×4, first 2 shown]
	s_waitcnt vmcnt(1)
	v_add_f64 v[84:85], v[10:11], v[50:51]
	s_mov_b32 s10, 0x4bc48dbf
	s_mov_b32 s11, 0xbfcea1e5
	v_add_f64 v[60:61], v[34:35], v[30:31]
	v_add_f64 v[74:75], v[28:29], -v[32:33]
	v_add_f64 v[62:63], v[32:33], v[28:29]
	v_add_f64 v[72:73], v[30:31], -v[34:35]
	v_add_f64 v[92:93], v[48:49], -v[8:9]
	s_mov_b32 s0, 0x93053d00
	s_mov_b32 s12, 0x24c2f84
	;; [unrolled: 1-line block ×4, first 2 shown]
	v_add_f64 v[97:98], v[50:51], v[90:91]
	v_add_f64 v[99:100], v[48:49], v[94:95]
	v_add_f64 v[90:91], v[50:51], -v[10:11]
	s_waitcnt vmcnt(0)
	v_add_f64 v[94:95], v[44:45], -v[4:5]
	v_add_f64 v[50:51], v[6:7], v[46:47]
	v_add_f64 v[46:47], v[46:47], -v[6:7]
	v_add_f64 v[44:45], v[4:5], v[44:45]
	s_mov_b32 s24, 0x4267c47c
	s_mov_b32 s1, 0xbfef11f4
	;; [unrolled: 1-line block ×4, first 2 shown]
	v_add_f64 v[56:57], v[18:19], v[22:23]
	v_add_f64 v[64:65], v[20:21], -v[16:17]
	v_add_f64 v[58:59], v[16:17], v[20:21]
	v_add_f64 v[66:67], v[22:23], -v[18:19]
	v_add_f64 v[48:49], v[8:9], v[48:49]
	v_mul_f64 v[103:104], v[86:87], s[12:13]
	v_mul_f64 v[105:106], v[82:83], s[34:35]
	s_mov_b32 s4, 0xe00740e9
	s_mov_b32 s6, 0xd0032e0c
	;; [unrolled: 1-line block ×4, first 2 shown]
	v_add_f64 v[42:43], v[42:43], v[97:98]
	v_add_f64 v[40:41], v[40:41], v[99:100]
	v_mul_f64 v[99:100], v[90:91], s[24:25]
	v_mul_f64 v[97:98], v[94:95], s[10:11]
	;; [unrolled: 1-line block ×4, first 2 shown]
	s_mov_b32 s20, 0x66966769
	s_mov_b32 s5, 0x3fec55a7
	;; [unrolled: 1-line block ×6, first 2 shown]
	v_mul_f64 v[137:138], v[94:95], s[22:23]
	v_mul_f64 v[119:120], v[92:93], s[20:21]
	;; [unrolled: 1-line block ×4, first 2 shown]
	v_fma_f64 v[175:176], v[78:79], s[6:7], v[103:104]
	v_fma_f64 v[177:178], v[68:69], s[14:15], -v[105:106]
	s_mov_b32 s18, 0xb2365da1
	s_mov_b32 s16, 0xebaa3ed8
	;; [unrolled: 1-line block ×4, first 2 shown]
	v_add_f64 v[38:39], v[38:39], v[42:43]
	v_add_f64 v[36:37], v[36:37], v[40:41]
	v_mul_f64 v[42:43], v[46:47], s[10:11]
	v_mul_f64 v[40:41], v[92:93], s[24:25]
	v_fma_f64 v[167:168], v[50:51], s[0:1], -v[97:98]
	v_fma_f64 v[171:172], v[48:49], s[4:5], v[99:100]
	v_fma_f64 v[97:98], v[50:51], s[0:1], v[97:98]
	v_fma_f64 v[189:190], v[50:51], s[6:7], -v[117:118]
	v_fma_f64 v[191:192], v[44:45], s[6:7], v[121:122]
	s_mov_b32 s27, 0xbfea55e2
	s_mov_b32 s29, 0x3fe5384d
	;; [unrolled: 1-line block ×4, first 2 shown]
	v_mul_f64 v[101:102], v[88:89], s[12:13]
	v_mul_f64 v[107:108], v[80:81], s[34:35]
	;; [unrolled: 1-line block ×5, first 2 shown]
	v_fma_f64 v[99:100], v[48:49], s[4:5], -v[99:100]
	s_mov_b32 s37, 0x3fcea1e5
	s_mov_b32 s36, s10
	v_mul_f64 v[143:144], v[90:91], s[28:29]
	v_add_f64 v[30:31], v[30:31], v[38:39]
	v_add_f64 v[28:29], v[28:29], v[36:37]
	v_fma_f64 v[169:170], v[44:45], s[0:1], v[42:43]
	v_fma_f64 v[42:43], v[44:45], s[0:1], -v[42:43]
	v_add_f64 v[167:168], v[2:3], v[167:168]
	v_mul_f64 v[129:130], v[82:83], s[36:37]
	v_add_f64 v[97:98], v[2:3], v[97:98]
	v_add_f64 v[189:190], v[2:3], v[189:190]
	;; [unrolled: 1-line block ×3, first 2 shown]
	v_fma_f64 v[199:200], v[44:45], s[18:19], v[141:142]
	s_mov_b32 s31, 0xbfefc445
	s_mov_b32 s30, s20
	v_mul_f64 v[111:112], v[72:73], s[22:23]
	v_mul_f64 v[131:132], v[80:81], s[36:37]
	;; [unrolled: 1-line block ×5, first 2 shown]
	v_fma_f64 v[173:174], v[76:77], s[6:7], -v[101:102]
	v_fma_f64 v[179:180], v[70:71], s[14:15], v[107:108]
	v_fma_f64 v[101:102], v[76:77], s[6:7], v[101:102]
	v_fma_f64 v[193:194], v[76:77], s[14:15], -v[125:126]
	v_fma_f64 v[195:196], v[78:79], s[14:15], v[127:128]
	v_add_f64 v[22:23], v[22:23], v[30:31]
	v_add_f64 v[20:21], v[20:21], v[28:29]
	v_fma_f64 v[30:31], v[84:85], s[4:5], -v[40:41]
	v_add_f64 v[169:170], v[0:1], v[169:170]
	v_fma_f64 v[40:41], v[84:85], s[4:5], v[40:41]
	v_add_f64 v[42:43], v[0:1], v[42:43]
	v_fma_f64 v[141:142], v[44:45], s[18:19], -v[141:142]
	v_mul_f64 v[36:37], v[72:73], s[24:25]
	v_mul_f64 v[147:148], v[86:87], s[24:25]
	v_fma_f64 v[197:198], v[68:69], s[0:1], -v[129:130]
	v_fma_f64 v[125:126], v[76:77], s[14:15], v[125:126]
	v_mul_f64 v[149:150], v[82:83], s[30:31]
	v_mul_f64 v[159:160], v[92:93], s[10:11]
	v_fma_f64 v[183:184], v[62:63], s[18:19], v[111:112]
	v_fma_f64 v[127:128], v[78:79], s[14:15], -v[127:128]
	v_mul_f64 v[109:110], v[74:75], s[22:23]
	v_mul_f64 v[115:116], v[66:67], s[20:21]
	;; [unrolled: 1-line block ×3, first 2 shown]
	v_fma_f64 v[107:108], v[70:71], s[14:15], -v[107:108]
	s_mov_b32 s39, 0x3fedeba7
	s_mov_b32 s38, s22
	v_mul_f64 v[163:164], v[46:47], s[30:31]
	v_add_f64 v[18:19], v[18:19], v[22:23]
	v_add_f64 v[16:17], v[16:17], v[20:21]
	v_fma_f64 v[20:21], v[78:79], s[6:7], -v[103:104]
	v_fma_f64 v[22:23], v[68:69], s[14:15], v[105:106]
	v_fma_f64 v[103:104], v[50:51], s[6:7], v[117:118]
	v_fma_f64 v[105:106], v[44:45], s[6:7], -v[121:122]
	v_fma_f64 v[117:118], v[84:85], s[16:17], -v[119:120]
	v_fma_f64 v[121:122], v[48:49], s[16:17], v[123:124]
	v_add_f64 v[30:31], v[30:31], v[167:168]
	v_add_f64 v[167:168], v[171:172], v[169:170]
	;; [unrolled: 1-line block ×4, first 2 shown]
	v_fma_f64 v[169:170], v[60:61], s[4:5], -v[133:134]
	v_add_f64 v[141:142], v[0:1], v[141:142]
	v_fma_f64 v[171:172], v[62:63], s[4:5], v[36:37]
	v_mul_f64 v[153:154], v[74:75], s[36:37]
	v_mul_f64 v[161:162], v[88:89], s[38:39]
	;; [unrolled: 1-line block ×3, first 2 shown]
	v_fma_f64 v[181:182], v[60:61], s[18:19], -v[109:110]
	v_fma_f64 v[187:188], v[58:59], s[16:17], v[115:116]
	v_fma_f64 v[109:110], v[60:61], s[18:19], v[109:110]
	v_mul_f64 v[113:114], v[64:65], s[20:21]
	v_add_f64 v[18:19], v[34:35], v[18:19]
	v_add_f64 v[16:17], v[32:33], v[16:17]
	v_fma_f64 v[32:33], v[84:85], s[16:17], v[119:120]
	v_fma_f64 v[34:35], v[48:49], s[16:17], -v[123:124]
	v_add_f64 v[103:104], v[2:3], v[103:104]
	v_add_f64 v[105:106], v[0:1], v[105:106]
	v_fma_f64 v[123:124], v[50:51], s[18:19], -v[137:138]
	v_fma_f64 v[137:138], v[50:51], s[18:19], v[137:138]
	v_add_f64 v[97:98], v[117:118], v[189:190]
	v_add_f64 v[99:100], v[121:122], v[191:192]
	;; [unrolled: 1-line block ×3, first 2 shown]
	v_fma_f64 v[119:120], v[70:71], s[0:1], v[131:132]
	v_fma_f64 v[121:122], v[60:61], s[4:5], v[133:134]
	v_fma_f64 v[133:134], v[48:49], s[6:7], -v[143:144]
	v_add_f64 v[40:41], v[101:102], v[40:41]
	v_add_f64 v[20:21], v[20:21], v[42:43]
	;; [unrolled: 1-line block ×3, first 2 shown]
	v_fma_f64 v[111:112], v[62:63], s[18:19], -v[111:112]
	v_mul_f64 v[38:39], v[64:65], s[22:23]
	v_mul_f64 v[135:136], v[66:67], s[22:23]
	;; [unrolled: 1-line block ×3, first 2 shown]
	v_fma_f64 v[185:186], v[56:57], s[16:17], -v[113:114]
	v_add_f64 v[18:19], v[26:27], v[18:19]
	v_add_f64 v[16:17], v[24:25], v[16:17]
	v_fma_f64 v[24:25], v[68:69], s[0:1], v[129:130]
	v_add_f64 v[129:130], v[0:1], v[199:200]
	v_add_f64 v[32:33], v[32:33], v[103:104]
	;; [unrolled: 1-line block ×3, first 2 shown]
	v_fma_f64 v[103:104], v[84:85], s[6:7], -v[139:140]
	v_add_f64 v[105:106], v[2:3], v[123:124]
	v_fma_f64 v[123:124], v[48:49], s[6:7], v[143:144]
	v_fma_f64 v[26:27], v[70:71], s[0:1], -v[131:132]
	v_fma_f64 v[131:132], v[84:85], s[6:7], v[139:140]
	v_fma_f64 v[139:140], v[50:51], s[16:17], -v[157:158]
	v_add_f64 v[137:138], v[2:3], v[137:138]
	v_add_f64 v[42:43], v[193:194], v[97:98]
	;; [unrolled: 1-line block ×6, first 2 shown]
	v_fma_f64 v[107:108], v[70:71], s[16:17], v[151:152]
	v_add_f64 v[30:31], v[177:178], v[30:31]
	v_mul_f64 v[28:29], v[86:87], s[38:39]
	v_fma_f64 v[201:202], v[56:57], s[18:19], -v[38:39]
	v_add_f64 v[14:15], v[14:15], v[18:19]
	v_add_f64 v[12:13], v[12:13], v[16:17]
	v_fma_f64 v[18:19], v[76:77], s[4:5], -v[145:146]
	v_fma_f64 v[16:17], v[62:63], s[4:5], -v[36:37]
	v_fma_f64 v[36:37], v[78:79], s[4:5], v[147:148]
	v_add_f64 v[32:33], v[125:126], v[32:33]
	v_add_f64 v[34:35], v[127:128], v[34:35]
	;; [unrolled: 1-line block ×4, first 2 shown]
	v_fma_f64 v[103:104], v[76:77], s[4:5], v[145:146]
	v_fma_f64 v[105:106], v[78:79], s[4:5], -v[147:148]
	v_fma_f64 v[123:124], v[84:85], s[0:1], -v[159:160]
	v_add_f64 v[127:128], v[2:3], v[139:140]
	v_add_f64 v[129:130], v[131:132], v[137:138]
	;; [unrolled: 1-line block ×6, first 2 shown]
	v_fma_f64 v[99:100], v[68:69], s[16:17], -v[149:150]
	v_fma_f64 v[125:126], v[44:45], s[16:17], v[163:164]
	v_add_f64 v[22:23], v[109:110], v[22:23]
	v_fma_f64 v[109:110], v[50:51], s[16:17], v[157:158]
	v_add_f64 v[14:15], v[10:11], v[14:15]
	v_add_f64 v[12:13], v[8:9], v[12:13]
	;; [unrolled: 1-line block ×4, first 2 shown]
	v_mul_f64 v[111:112], v[94:95], s[26:27]
	v_add_f64 v[24:25], v[24:25], v[32:33]
	v_add_f64 v[26:27], v[26:27], v[34:35]
	;; [unrolled: 1-line block ×4, first 2 shown]
	v_fma_f64 v[32:33], v[68:69], s[16:17], v[149:150]
	v_fma_f64 v[34:35], v[70:71], s[16:17], -v[151:152]
	v_fma_f64 v[101:102], v[76:77], s[18:19], -v[161:162]
	v_add_f64 v[123:124], v[123:124], v[127:128]
	v_add_f64 v[103:104], v[103:104], v[129:130]
	v_add_f64 v[105:106], v[105:106], v[131:132]
	v_mul_f64 v[127:128], v[66:67], s[24:25]
	v_mul_f64 v[129:130], v[46:47], s[26:27]
	v_add_f64 v[8:9], v[187:188], v[97:98]
	v_fma_f64 v[97:98], v[62:63], s[0:1], v[155:156]
	v_add_f64 v[119:120], v[0:1], v[125:126]
	v_mul_f64 v[125:126], v[64:65], s[24:25]
	v_add_f64 v[109:110], v[2:3], v[109:110]
	v_add_f64 v[6:7], v[6:7], v[14:15]
	;; [unrolled: 1-line block ×3, first 2 shown]
	v_mul_f64 v[12:13], v[82:83], s[24:25]
	v_fma_f64 v[117:118], v[48:49], s[0:1], v[165:166]
	v_add_f64 v[10:11], v[185:186], v[30:31]
	v_add_f64 v[24:25], v[121:122], v[24:25]
	v_mul_f64 v[121:122], v[80:81], s[24:25]
	v_add_f64 v[14:15], v[99:100], v[18:19]
	v_fma_f64 v[18:19], v[60:61], s[0:1], -v[153:154]
	v_add_f64 v[36:37], v[107:108], v[36:37]
	s_mov_b32 s25, 0xbfddbe06
	v_mul_f64 v[99:100], v[64:65], s[34:35]
	v_mul_f64 v[107:108], v[66:67], s[34:35]
	v_add_f64 v[32:33], v[32:33], v[103:104]
	v_fma_f64 v[103:104], v[60:61], s[0:1], v[153:154]
	v_add_f64 v[34:35], v[34:35], v[105:106]
	v_fma_f64 v[105:106], v[62:63], s[0:1], -v[155:156]
	v_add_f64 v[101:102], v[101:102], v[123:124]
	v_mul_f64 v[94:95], v[94:95], s[24:25]
	v_fma_f64 v[30:31], v[58:59], s[18:19], v[135:136]
	v_add_f64 v[16:17], v[16:17], v[26:27]
	v_fma_f64 v[26:27], v[56:57], s[18:19], v[38:39]
	v_fma_f64 v[38:39], v[58:59], s[18:19], -v[135:136]
	v_fma_f64 v[137:138], v[50:51], s[14:15], -v[111:112]
	;; [unrolled: 1-line block ×3, first 2 shown]
	v_mul_f64 v[139:140], v[92:93], s[22:23]
	v_mul_f64 v[92:93], v[92:93], s[26:27]
	v_fma_f64 v[145:146], v[48:49], s[0:1], -v[165:166]
	v_add_f64 v[117:118], v[117:118], v[119:120]
	v_fma_f64 v[119:120], v[78:79], s[18:19], v[28:29]
	v_add_f64 v[131:132], v[18:19], v[14:15]
	v_mul_f64 v[18:19], v[46:47], s[24:25]
	v_add_f64 v[36:37], v[97:98], v[36:37]
	v_fma_f64 v[46:47], v[84:85], s[0:1], v[159:160]
	v_fma_f64 v[97:98], v[44:45], s[16:17], -v[163:164]
	v_fma_f64 v[133:134], v[56:57], s[14:15], -v[99:100]
	v_fma_f64 v[135:136], v[58:59], s[14:15], v[107:108]
	v_add_f64 v[32:33], v[103:104], v[32:33]
	v_add_f64 v[103:104], v[105:106], v[34:35]
	v_fma_f64 v[34:35], v[56:57], s[14:15], v[99:100]
	v_fma_f64 v[99:100], v[58:59], s[14:15], -v[107:108]
	v_fma_f64 v[105:106], v[50:51], s[14:15], v[111:112]
	v_mul_f64 v[107:108], v[90:91], s[22:23]
	v_fma_f64 v[111:112], v[44:45], s[14:15], -v[129:130]
	v_mul_f64 v[90:91], v[90:91], s[26:27]
	v_add_f64 v[137:138], v[2:3], v[137:138]
	v_add_f64 v[101:102], v[123:124], v[101:102]
	v_fma_f64 v[123:124], v[50:51], s[4:5], v[94:95]
	v_fma_f64 v[50:51], v[50:51], s[4:5], -v[94:95]
	v_fma_f64 v[147:148], v[84:85], s[18:19], -v[139:140]
	v_mul_f64 v[149:150], v[88:89], s[10:11]
	v_mul_f64 v[94:95], v[86:87], s[10:11]
	v_fma_f64 v[151:152], v[84:85], s[14:15], v[92:93]
	v_fma_f64 v[143:144], v[44:45], s[4:5], -v[18:19]
	v_fma_f64 v[18:19], v[44:45], s[4:5], v[18:19]
	v_add_f64 v[46:47], v[46:47], v[109:110]
	v_add_f64 v[97:98], v[0:1], v[97:98]
	v_fma_f64 v[109:110], v[44:45], s[14:15], v[129:130]
	v_fma_f64 v[129:130], v[76:77], s[18:19], v[161:162]
	;; [unrolled: 1-line block ×3, first 2 shown]
	v_mul_f64 v[88:89], v[88:89], s[30:31]
	v_mul_f64 v[86:87], v[86:87], s[30:31]
	v_fma_f64 v[28:29], v[78:79], s[18:19], -v[28:29]
	v_add_f64 v[105:106], v[2:3], v[105:106]
	v_fma_f64 v[139:140], v[48:49], s[18:19], -v[107:108]
	v_add_f64 v[111:112], v[0:1], v[111:112]
	v_fma_f64 v[153:154], v[48:49], s[14:15], -v[90:91]
	v_fma_f64 v[107:108], v[48:49], s[18:19], v[107:108]
	v_add_f64 v[117:118], v[119:120], v[117:118]
	v_add_f64 v[123:124], v[2:3], v[123:124]
	;; [unrolled: 1-line block ×3, first 2 shown]
	v_fma_f64 v[50:51], v[84:85], s[14:15], -v[92:93]
	v_fma_f64 v[119:120], v[70:71], s[4:5], v[121:122]
	v_fma_f64 v[12:13], v[68:69], s[4:5], v[12:13]
	v_mul_f64 v[14:15], v[74:75], s[26:27]
	v_add_f64 v[143:144], v[0:1], v[143:144]
	v_fma_f64 v[115:116], v[58:59], s[16:17], -v[115:116]
	v_add_f64 v[42:43], v[171:172], v[42:43]
	v_add_f64 v[97:98], v[145:146], v[97:98]
	;; [unrolled: 1-line block ×4, first 2 shown]
	v_fma_f64 v[18:19], v[48:49], s[14:15], v[90:91]
	v_add_f64 v[46:47], v[129:130], v[46:47]
	v_add_f64 v[129:130], v[147:148], v[137:138]
	v_fma_f64 v[137:138], v[76:77], s[0:1], -v[149:150]
	v_mul_f64 v[145:146], v[82:83], s[28:29]
	v_mul_f64 v[147:148], v[80:81], s[28:29]
	v_add_f64 v[44:45], v[44:45], v[105:106]
	v_fma_f64 v[48:49], v[76:77], s[0:1], v[149:150]
	v_add_f64 v[84:85], v[139:140], v[111:112]
	v_fma_f64 v[90:91], v[78:79], s[0:1], -v[94:95]
	v_add_f64 v[92:93], v[151:152], v[123:124]
	v_fma_f64 v[105:106], v[76:77], s[16:17], v[88:89]
	v_mul_f64 v[82:83], v[82:83], s[22:23]
	v_fma_f64 v[123:124], v[78:79], s[16:17], -v[86:87]
	v_mul_f64 v[80:81], v[80:81], s[22:23]
	v_fma_f64 v[94:95], v[78:79], s[0:1], v[94:95]
	v_add_f64 v[111:112], v[153:154], v[143:144]
	v_fma_f64 v[76:77], v[76:77], s[16:17], -v[88:89]
	v_add_f64 v[2:3], v[50:51], v[2:3]
	v_add_f64 v[28:29], v[28:29], v[97:98]
	v_add_f64 v[97:98], v[107:108], v[109:110]
	v_fma_f64 v[50:51], v[78:79], s[16:17], v[86:87]
	v_add_f64 v[0:1], v[18:19], v[0:1]
	v_add_f64 v[117:118], v[119:120], v[117:118]
	v_mul_f64 v[119:120], v[72:73], s[26:27]
	v_add_f64 v[109:110], v[137:138], v[129:130]
	v_mul_f64 v[129:130], v[74:75], s[20:21]
	v_mul_f64 v[18:19], v[72:73], s[20:21]
	v_mul_f64 v[74:75], v[74:75], s[12:13]
	v_add_f64 v[44:45], v[48:49], v[44:45]
	v_fma_f64 v[48:49], v[68:69], s[6:7], v[145:146]
	v_add_f64 v[78:79], v[90:91], v[84:85]
	v_fma_f64 v[84:85], v[70:71], s[6:7], -v[147:148]
	v_add_f64 v[86:87], v[105:106], v[92:93]
	v_fma_f64 v[88:89], v[68:69], s[18:19], v[82:83]
	v_mul_f64 v[72:73], v[72:73], s[12:13]
	v_fma_f64 v[92:93], v[70:71], s[18:19], -v[80:81]
	v_fma_f64 v[107:108], v[70:71], s[4:5], -v[121:122]
	v_add_f64 v[90:91], v[123:124], v[111:112]
	v_fma_f64 v[121:122], v[68:69], s[6:7], -v[145:146]
	v_add_f64 v[12:13], v[12:13], v[46:47]
	;; [unrolled: 2-line block ×3, first 2 shown]
	v_fma_f64 v[97:98], v[70:71], s[6:7], v[147:148]
	v_add_f64 v[2:3], v[76:77], v[2:3]
	v_fma_f64 v[68:69], v[70:71], s[18:19], v[80:81]
	v_add_f64 v[0:1], v[50:51], v[0:1]
	v_mul_f64 v[111:112], v[64:65], s[12:13]
	v_mul_f64 v[123:124], v[66:67], s[12:13]
	v_mul_f64 v[64:65], v[64:65], s[10:11]
	v_fma_f64 v[82:83], v[60:61], s[6:7], v[74:75]
	v_mul_f64 v[66:67], v[66:67], s[10:11]
	v_add_f64 v[44:45], v[48:49], v[44:45]
	v_fma_f64 v[48:49], v[60:61], s[16:17], v[129:130]
	v_add_f64 v[76:77], v[84:85], v[78:79]
	v_fma_f64 v[78:79], v[62:63], s[16:17], -v[18:19]
	v_add_f64 v[80:81], v[88:89], v[86:87]
	v_fma_f64 v[86:87], v[62:63], s[6:7], -v[72:73]
	v_fma_f64 v[141:142], v[60:61], s[14:15], -v[14:15]
	v_fma_f64 v[14:15], v[60:61], s[14:15], v[14:15]
	v_add_f64 v[84:85], v[92:93], v[90:91]
	v_add_f64 v[28:29], v[107:108], v[28:29]
	v_fma_f64 v[50:51], v[62:63], s[14:15], -v[119:120]
	v_fma_f64 v[105:106], v[62:63], s[14:15], v[119:120]
	v_add_f64 v[70:71], v[121:122], v[109:110]
	v_fma_f64 v[88:89], v[60:61], s[16:17], -v[129:130]
	v_add_f64 v[90:91], v[97:98], v[94:95]
	v_fma_f64 v[18:19], v[62:63], s[16:17], v[18:19]
	v_fma_f64 v[60:61], v[60:61], s[6:7], -v[74:75]
	v_add_f64 v[2:3], v[46:47], v[2:3]
	v_fma_f64 v[46:47], v[62:63], s[6:7], v[72:73]
	v_add_f64 v[0:1], v[68:69], v[0:1]
	v_fma_f64 v[74:75], v[58:59], s[6:7], -v[123:124]
	v_fma_f64 v[113:114], v[56:57], s[16:17], v[113:114]
	v_add_f64 v[40:41], v[169:170], v[40:41]
	v_add_f64 v[44:45], v[48:49], v[44:45]
	v_fma_f64 v[62:63], v[56:57], s[6:7], -v[111:112]
	v_add_f64 v[48:49], v[78:79], v[76:77]
	v_add_f64 v[78:79], v[82:83], v[80:81]
	v_fma_f64 v[82:83], v[56:57], s[0:1], v[64:65]
	v_fma_f64 v[76:77], v[56:57], s[4:5], v[125:126]
	v_add_f64 v[72:73], v[14:15], v[12:13]
	v_add_f64 v[80:81], v[86:87], v[84:85]
	v_fma_f64 v[84:85], v[58:59], s[0:1], -v[66:67]
	v_fma_f64 v[86:87], v[58:59], s[4:5], -v[127:128]
	v_add_f64 v[28:29], v[50:51], v[28:29]
	v_fma_f64 v[50:51], v[56:57], s[6:7], v[111:112]
	v_add_f64 v[92:93], v[141:142], v[101:102]
	v_add_f64 v[94:95], v[105:106], v[117:118]
	v_fma_f64 v[68:69], v[58:59], s[6:7], v[123:124]
	v_add_f64 v[70:71], v[88:89], v[70:71]
	v_add_f64 v[88:89], v[18:19], v[90:91]
	v_fma_f64 v[90:91], v[56:57], s[4:5], -v[125:126]
	v_fma_f64 v[97:98], v[58:59], s[4:5], v[127:128]
	v_fma_f64 v[56:57], v[56:57], s[0:1], -v[64:65]
	v_add_f64 v[60:61], v[60:61], v[2:3]
	v_fma_f64 v[58:59], v[58:59], s[0:1], v[66:67]
	v_add_f64 v[64:65], v[46:47], v[0:1]
	v_add_f64 v[0:1], v[115:116], v[20:21]
	v_add_f64 v[16:17], v[38:39], v[16:17]
	v_add_f64 v[20:21], v[135:136], v[36:37]
	v_add_f64 v[38:39], v[82:83], v[78:79]
	v_add_f64 v[18:19], v[26:27], v[24:25]
	v_add_f64 v[26:27], v[34:35], v[32:33]
	v_add_f64 v[34:35], v[76:77], v[44:45]
	v_add_f64 v[36:37], v[84:85], v[80:81]
	v_add_f64 v[32:33], v[86:87], v[48:49]
	v_add_f64 v[12:13], v[30:31], v[42:43]
	v_add_f64 v[30:31], v[50:51], v[72:73]
	v_add_f64 v[28:29], v[74:75], v[28:29]
	v_add_f64 v[24:25], v[99:100], v[103:104]
	v_add_f64 v[2:3], v[113:114], v[22:23]
	v_add_f64 v[14:15], v[201:202], v[40:41]
	v_add_f64 v[22:23], v[133:134], v[131:132]
	v_add_f64 v[42:43], v[62:63], v[92:93]
	v_add_f64 v[40:41], v[68:69], v[94:95]
	v_add_f64 v[46:47], v[90:91], v[70:71]
	v_add_f64 v[44:45], v[97:98], v[88:89]
	v_add_f64 v[50:51], v[56:57], v[60:61]
	v_add_f64 v[48:49], v[58:59], v[64:65]
	v_mul_u32_u24_e32 v56, 0xd0, v55
	v_lshlrev_b32_e32 v57, 4, v96
	v_add3_u32 v56, 0, v56, v57
	ds_write_b128 v56, v[4:7]
	ds_write_b128 v56, v[36:39] offset:16
	ds_write_b128 v56, v[32:35] offset:32
	;; [unrolled: 1-line block ×12, first 2 shown]
.LBB0_14:
	s_or_b32 exec_lo, exec_lo, s33
	s_waitcnt vmcnt(0) lgkmcnt(0)
	s_barrier
	buffer_gl0_inv
	s_and_saveexec_b32 s0, vcc_lo
	s_cbranch_execz .LBB0_16
; %bb.15:
	v_mul_u32_u24_e32 v0, 10, v55
	v_lshlrev_b32_e32 v1, 4, v96
	s_mov_b32 s4, 0x640f44db
	s_mov_b32 s14, 0x43842ef
	;; [unrolled: 1-line block ×3, first 2 shown]
	v_lshlrev_b32_e32 v0, 4, v0
	s_mov_b32 s12, 0x8eee2c13
	s_mov_b32 s6, 0x7f775887
	;; [unrolled: 1-line block ×4, first 2 shown]
	s_clause 0x9
	global_load_dwordx4 v[6:9], v0, s[8:9] offset:64
	global_load_dwordx4 v[10:13], v0, s[8:9] offset:80
	;; [unrolled: 1-line block ×4, first 2 shown]
	global_load_dwordx4 v[36:39], v0, s[8:9]
	global_load_dwordx4 v[44:47], v0, s[8:9] offset:144
	global_load_dwordx4 v[48:51], v0, s[8:9] offset:32
	;; [unrolled: 1-line block ×5, first 2 shown]
	v_lshlrev_b32_e32 v0, 4, v55
	v_mov_b32_e32 v55, 0
	s_mov_b32 s8, 0x8764f0ba
	s_mov_b32 s10, 0x9bcd5057
	s_mov_b32 s20, 0xfd768dbf
	v_add3_u32 v2, 0, v0, v1
	v_add3_u32 v0, 0, v1, v0
	s_mov_b32 s5, 0xbfc2375f
	s_mov_b32 s15, 0x3fefac9e
	ds_read_b128 v[18:21], v2 offset:1040
	ds_read_b128 v[22:25], v2 offset:1248
	;; [unrolled: 1-line block ×10, first 2 shown]
	ds_read_b128 v[0:3], v0
	s_mov_b32 s1, 0x3fda9628
	s_mov_b32 s13, 0xbfed1bb4
	s_mov_b32 s7, 0xbfe4f49e
	s_mov_b32 s17, 0x3fe82f19
	s_mov_b32 s9, 0x3feaeb8c
	s_mov_b32 s19, 0xbfe14ced
	s_mov_b32 s11, 0xbfeeb42a
	s_mov_b32 s21, 0x3fd207e7
	s_mov_b32 s25, 0xbfefac9e
	s_mov_b32 s27, 0xbfe82f19
	s_mov_b32 s31, 0xbfd207e7
	s_mov_b32 s24, s14
	s_mov_b32 s26, s16
	s_mov_b32 s30, s20
	s_mov_b32 s23, 0x3fed1bb4
	s_mov_b32 s29, 0x3fe14ced
	s_mov_b32 s22, s12
	s_mov_b32 s28, s18
	s_waitcnt vmcnt(9) lgkmcnt(10)
	v_mul_f64 v[4:5], v[6:7], v[20:21]
	s_waitcnt vmcnt(8) lgkmcnt(9)
	v_mul_f64 v[26:27], v[10:11], v[24:25]
	v_mul_f64 v[100:101], v[8:9], v[20:21]
	s_waitcnt vmcnt(7) lgkmcnt(7)
	v_mul_f64 v[28:29], v[14:15], v[74:75]
	s_waitcnt vmcnt(5) lgkmcnt(6)
	;; [unrolled: 2-line block ×3, first 2 shown]
	v_mul_f64 v[42:43], v[44:45], v[82:83]
	v_mul_f64 v[78:79], v[38:39], v[78:79]
	;; [unrolled: 1-line block ×6, first 2 shown]
	s_waitcnt vmcnt(3) lgkmcnt(4)
	v_mul_f64 v[104:105], v[48:49], v[86:87]
	v_mul_f64 v[86:87], v[50:51], v[86:87]
	s_waitcnt vmcnt(1) lgkmcnt(2)
	v_mul_f64 v[108:109], v[60:61], v[94:95]
	s_waitcnt vmcnt(0) lgkmcnt(1)
	v_mul_f64 v[110:111], v[64:65], v[98:99]
	v_mul_f64 v[94:95], v[62:63], v[94:95]
	;; [unrolled: 1-line block ×6, first 2 shown]
	v_fma_f64 v[24:25], v[8:9], v[18:19], v[4:5]
	v_fma_f64 v[20:21], v[12:13], v[22:23], v[26:27]
	v_fma_f64 v[26:27], v[18:19], v[6:7], -v[100:101]
	v_fma_f64 v[28:29], v[16:17], v[72:73], v[28:29]
	v_fma_f64 v[40:41], v[38:39], v[76:77], v[40:41]
	;; [unrolled: 1-line block ×3, first 2 shown]
	v_fma_f64 v[42:43], v[76:77], v[36:37], -v[78:79]
	v_fma_f64 v[6:7], v[80:81], v[44:45], -v[82:83]
	v_fma_f64 v[16:17], v[34:35], v[68:69], v[30:31]
	v_fma_f64 v[22:23], v[22:23], v[10:11], -v[102:103]
	v_fma_f64 v[18:19], v[68:69], v[32:33], -v[70:71]
	v_fma_f64 v[32:33], v[50:51], v[84:85], v[104:105]
	v_fma_f64 v[34:35], v[84:85], v[48:49], -v[86:87]
	v_fma_f64 v[36:37], v[62:63], v[92:93], v[108:109]
	v_fma_f64 v[8:9], v[66:67], v[96:97], v[110:111]
	v_fma_f64 v[38:39], v[92:93], v[60:61], -v[94:95]
	v_fma_f64 v[10:11], v[96:97], v[64:65], -v[98:99]
	v_lshlrev_b64 v[48:49], 4, v[52:53]
	v_lshlrev_b64 v[50:51], 4, v[54:55]
	v_fma_f64 v[30:31], v[72:73], v[14:15], -v[74:75]
	v_fma_f64 v[12:13], v[58:59], v[88:89], v[106:107]
	v_fma_f64 v[14:15], v[88:89], v[56:57], -v[90:91]
	v_add_f64 v[44:45], v[24:25], v[20:21]
	v_add_f64 v[72:73], v[24:25], -v[20:21]
	v_add_f64 v[52:53], v[40:41], v[4:5]
	v_add_f64 v[54:55], v[40:41], -v[4:5]
	v_add_f64 v[60:61], v[42:43], -v[6:7]
	v_add_f64 v[62:63], v[42:43], v[6:7]
	s_waitcnt lgkmcnt(0)
	v_add_f64 v[40:41], v[2:3], v[40:41]
	v_add_f64 v[42:43], v[42:43], v[0:1]
	;; [unrolled: 1-line block ×3, first 2 shown]
	v_add_f64 v[76:77], v[28:29], -v[16:17]
	v_add_f64 v[56:57], v[26:27], -v[22:23]
	v_add_f64 v[68:69], v[36:37], v[8:9]
	v_add_f64 v[84:85], v[36:37], -v[8:9]
	v_add_f64 v[70:71], v[38:39], -v[10:11]
	v_add_f64 v[86:87], v[38:39], v[10:11]
	v_add_f64 v[74:75], v[26:27], v[22:23]
	v_add_f64 v[58:59], v[30:31], -v[18:19]
	v_add_f64 v[64:65], v[32:33], v[12:13]
	v_add_f64 v[66:67], v[34:35], -v[14:15]
	v_add_f64 v[80:81], v[32:33], -v[12:13]
	v_add_f64 v[82:83], v[34:35], v[14:15]
	v_add_f64 v[78:79], v[30:31], v[18:19]
	v_mul_f64 v[88:89], v[44:45], s[4:5]
	v_mul_f64 v[96:97], v[44:45], s[0:1]
	;; [unrolled: 1-line block ×6, first 2 shown]
	v_add_f64 v[36:37], v[36:37], v[40:41]
	v_add_f64 v[38:39], v[38:39], v[42:43]
	v_mul_f64 v[108:109], v[52:53], s[4:5]
	v_mul_f64 v[110:111], v[54:55], s[24:25]
	;; [unrolled: 1-line block ×20, first 2 shown]
	v_add_f64 v[32:33], v[32:33], v[36:37]
	v_add_f64 v[34:35], v[34:35], v[38:39]
	v_mul_f64 v[130:131], v[68:69], s[4:5]
	v_mul_f64 v[132:133], v[68:69], s[10:11]
	;; [unrolled: 1-line block ×20, first 2 shown]
	v_add_f64 v[28:29], v[28:29], v[32:33]
	v_add_f64 v[30:31], v[30:31], v[34:35]
	v_mul_f64 v[158:159], v[84:85], s[14:15]
	v_mul_f64 v[160:161], v[84:85], s[20:21]
	;; [unrolled: 1-line block ×4, first 2 shown]
	v_fma_f64 v[168:169], v[60:61], s[20:21], v[92:93]
	v_fma_f64 v[170:171], v[62:63], s[10:11], v[94:95]
	;; [unrolled: 1-line block ×3, first 2 shown]
	v_fma_f64 v[94:95], v[62:63], s[10:11], -v[94:95]
	v_fma_f64 v[176:177], v[60:61], s[16:17], v[100:101]
	v_fma_f64 v[178:179], v[62:63], s[6:7], v[102:103]
	;; [unrolled: 1-line block ×3, first 2 shown]
	v_fma_f64 v[102:103], v[62:63], s[6:7], -v[102:103]
	v_fma_f64 v[182:183], v[60:61], s[14:15], v[108:109]
	v_fma_f64 v[108:109], v[60:61], s[24:25], v[108:109]
	;; [unrolled: 1-line block ×7, first 2 shown]
	v_fma_f64 v[54:55], v[62:63], s[8:9], -v[54:55]
	v_fma_f64 v[188:189], v[62:63], s[0:1], v[118:119]
	v_fma_f64 v[118:119], v[62:63], s[0:1], -v[118:119]
	v_fma_f64 v[184:185], v[62:63], s[4:5], v[110:111]
	v_fma_f64 v[110:111], v[62:63], s[4:5], -v[110:111]
	v_add_f64 v[24:25], v[24:25], v[28:29]
	v_add_f64 v[26:27], v[26:27], v[30:31]
	v_fma_f64 v[164:165], v[56:57], s[14:15], v[88:89]
	v_fma_f64 v[166:167], v[58:59], s[12:13], v[90:91]
	;; [unrolled: 1-line block ×41, first 2 shown]
	v_fma_f64 v[38:39], v[74:75], s[4:5], -v[136:137]
	v_fma_f64 v[70:71], v[74:75], s[0:1], v[138:139]
	v_fma_f64 v[136:137], v[74:75], s[0:1], -v[138:139]
	v_fma_f64 v[138:139], v[74:75], s[6:7], v[140:141]
	;; [unrolled: 2-line block ×19, first 2 shown]
	v_fma_f64 v[84:85], v[86:87], s[0:1], -v[84:85]
	v_add_f64 v[28:29], v[2:3], v[168:169]
	v_add_f64 v[30:31], v[0:1], v[170:171]
	;; [unrolled: 1-line block ×110, first 2 shown]
	v_add_co_u32 v4, vcc_lo, s2, v48
	v_add_co_ci_u32_e32 v5, vcc_lo, s3, v49, vcc_lo
	v_add_co_u32 v4, vcc_lo, v4, v50
	v_add_co_ci_u32_e32 v5, vcc_lo, v5, v51, vcc_lo
	;; [unrolled: 2-line block ×3, first 2 shown]
	global_store_dwordx4 v[4:5], v[32:35], off offset:208
	global_store_dwordx4 v[4:5], v[28:31], off offset:416
	;; [unrolled: 1-line block ×9, first 2 shown]
	global_store_dwordx4 v[4:5], v[44:47], off
	global_store_dwordx4 v[6:7], v[40:43], off offset:32
.LBB0_16:
	s_endpgm
	.section	.rodata,"a",@progbits
	.p2align	6, 0x0
	.amdhsa_kernel fft_rtc_fwd_len143_factors_13_11_wgs_182_tpt_13_dp_ip_CI_unitstride_sbrr_dirReg
		.amdhsa_group_segment_fixed_size 0
		.amdhsa_private_segment_fixed_size 0
		.amdhsa_kernarg_size 88
		.amdhsa_user_sgpr_count 6
		.amdhsa_user_sgpr_private_segment_buffer 1
		.amdhsa_user_sgpr_dispatch_ptr 0
		.amdhsa_user_sgpr_queue_ptr 0
		.amdhsa_user_sgpr_kernarg_segment_ptr 1
		.amdhsa_user_sgpr_dispatch_id 0
		.amdhsa_user_sgpr_flat_scratch_init 0
		.amdhsa_user_sgpr_private_segment_size 0
		.amdhsa_wavefront_size32 1
		.amdhsa_uses_dynamic_stack 0
		.amdhsa_system_sgpr_private_segment_wavefront_offset 0
		.amdhsa_system_sgpr_workgroup_id_x 1
		.amdhsa_system_sgpr_workgroup_id_y 0
		.amdhsa_system_sgpr_workgroup_id_z 0
		.amdhsa_system_sgpr_workgroup_info 0
		.amdhsa_system_vgpr_workitem_id 0
		.amdhsa_next_free_vgpr 238
		.amdhsa_next_free_sgpr 40
		.amdhsa_reserve_vcc 1
		.amdhsa_reserve_flat_scratch 0
		.amdhsa_float_round_mode_32 0
		.amdhsa_float_round_mode_16_64 0
		.amdhsa_float_denorm_mode_32 3
		.amdhsa_float_denorm_mode_16_64 3
		.amdhsa_dx10_clamp 1
		.amdhsa_ieee_mode 1
		.amdhsa_fp16_overflow 0
		.amdhsa_workgroup_processor_mode 1
		.amdhsa_memory_ordered 1
		.amdhsa_forward_progress 0
		.amdhsa_shared_vgpr_count 0
		.amdhsa_exception_fp_ieee_invalid_op 0
		.amdhsa_exception_fp_denorm_src 0
		.amdhsa_exception_fp_ieee_div_zero 0
		.amdhsa_exception_fp_ieee_overflow 0
		.amdhsa_exception_fp_ieee_underflow 0
		.amdhsa_exception_fp_ieee_inexact 0
		.amdhsa_exception_int_div_zero 0
	.end_amdhsa_kernel
	.text
.Lfunc_end0:
	.size	fft_rtc_fwd_len143_factors_13_11_wgs_182_tpt_13_dp_ip_CI_unitstride_sbrr_dirReg, .Lfunc_end0-fft_rtc_fwd_len143_factors_13_11_wgs_182_tpt_13_dp_ip_CI_unitstride_sbrr_dirReg
                                        ; -- End function
	.section	.AMDGPU.csdata,"",@progbits
; Kernel info:
; codeLenInByte = 8352
; NumSgprs: 42
; NumVgprs: 238
; ScratchSize: 0
; MemoryBound: 1
; FloatMode: 240
; IeeeMode: 1
; LDSByteSize: 0 bytes/workgroup (compile time only)
; SGPRBlocks: 5
; VGPRBlocks: 29
; NumSGPRsForWavesPerEU: 42
; NumVGPRsForWavesPerEU: 238
; Occupancy: 4
; WaveLimiterHint : 1
; COMPUTE_PGM_RSRC2:SCRATCH_EN: 0
; COMPUTE_PGM_RSRC2:USER_SGPR: 6
; COMPUTE_PGM_RSRC2:TRAP_HANDLER: 0
; COMPUTE_PGM_RSRC2:TGID_X_EN: 1
; COMPUTE_PGM_RSRC2:TGID_Y_EN: 0
; COMPUTE_PGM_RSRC2:TGID_Z_EN: 0
; COMPUTE_PGM_RSRC2:TIDIG_COMP_CNT: 0
	.text
	.p2alignl 6, 3214868480
	.fill 48, 4, 3214868480
	.type	__hip_cuid_ed2705cf2856d4d3,@object ; @__hip_cuid_ed2705cf2856d4d3
	.section	.bss,"aw",@nobits
	.globl	__hip_cuid_ed2705cf2856d4d3
__hip_cuid_ed2705cf2856d4d3:
	.byte	0                               ; 0x0
	.size	__hip_cuid_ed2705cf2856d4d3, 1

	.ident	"AMD clang version 19.0.0git (https://github.com/RadeonOpenCompute/llvm-project roc-6.4.0 25133 c7fe45cf4b819c5991fe208aaa96edf142730f1d)"
	.section	".note.GNU-stack","",@progbits
	.addrsig
	.addrsig_sym __hip_cuid_ed2705cf2856d4d3
	.amdgpu_metadata
---
amdhsa.kernels:
  - .args:
      - .actual_access:  read_only
        .address_space:  global
        .offset:         0
        .size:           8
        .value_kind:     global_buffer
      - .offset:         8
        .size:           8
        .value_kind:     by_value
      - .actual_access:  read_only
        .address_space:  global
        .offset:         16
        .size:           8
        .value_kind:     global_buffer
      - .actual_access:  read_only
        .address_space:  global
        .offset:         24
        .size:           8
        .value_kind:     global_buffer
      - .offset:         32
        .size:           8
        .value_kind:     by_value
      - .actual_access:  read_only
        .address_space:  global
        .offset:         40
        .size:           8
        .value_kind:     global_buffer
      - .actual_access:  read_only
        .address_space:  global
        .offset:         48
        .size:           8
        .value_kind:     global_buffer
      - .offset:         56
        .size:           4
        .value_kind:     by_value
      - .actual_access:  read_only
        .address_space:  global
        .offset:         64
        .size:           8
        .value_kind:     global_buffer
      - .actual_access:  read_only
        .address_space:  global
        .offset:         72
        .size:           8
        .value_kind:     global_buffer
      - .address_space:  global
        .offset:         80
        .size:           8
        .value_kind:     global_buffer
    .group_segment_fixed_size: 0
    .kernarg_segment_align: 8
    .kernarg_segment_size: 88
    .language:       OpenCL C
    .language_version:
      - 2
      - 0
    .max_flat_workgroup_size: 182
    .name:           fft_rtc_fwd_len143_factors_13_11_wgs_182_tpt_13_dp_ip_CI_unitstride_sbrr_dirReg
    .private_segment_fixed_size: 0
    .sgpr_count:     42
    .sgpr_spill_count: 0
    .symbol:         fft_rtc_fwd_len143_factors_13_11_wgs_182_tpt_13_dp_ip_CI_unitstride_sbrr_dirReg.kd
    .uniform_work_group_size: 1
    .uses_dynamic_stack: false
    .vgpr_count:     238
    .vgpr_spill_count: 0
    .wavefront_size: 32
    .workgroup_processor_mode: 1
amdhsa.target:   amdgcn-amd-amdhsa--gfx1030
amdhsa.version:
  - 1
  - 2
...

	.end_amdgpu_metadata
